;; amdgpu-corpus repo=ROCm/rocFFT kind=compiled arch=gfx1030 opt=O3
	.text
	.amdgcn_target "amdgcn-amd-amdhsa--gfx1030"
	.amdhsa_code_object_version 6
	.protected	fft_rtc_back_len56_factors_2_7_4_wgs_128_tpt_8_dim3_dp_op_CI_CI_sbcr_dirReg_intrinsicReadWrite ; -- Begin function fft_rtc_back_len56_factors_2_7_4_wgs_128_tpt_8_dim3_dp_op_CI_CI_sbcr_dirReg_intrinsicReadWrite
	.globl	fft_rtc_back_len56_factors_2_7_4_wgs_128_tpt_8_dim3_dp_op_CI_CI_sbcr_dirReg_intrinsicReadWrite
	.p2align	8
	.type	fft_rtc_back_len56_factors_2_7_4_wgs_128_tpt_8_dim3_dp_op_CI_CI_sbcr_dirReg_intrinsicReadWrite,@function
fft_rtc_back_len56_factors_2_7_4_wgs_128_tpt_8_dim3_dp_op_CI_CI_sbcr_dirReg_intrinsicReadWrite: ; @fft_rtc_back_len56_factors_2_7_4_wgs_128_tpt_8_dim3_dp_op_CI_CI_sbcr_dirReg_intrinsicReadWrite
; %bb.0:
	s_load_dwordx4 s[0:3], s[4:5], 0x8
	s_mov_b32 s7, 0
	s_mov_b64 s[26:27], 0
	s_waitcnt lgkmcnt(0)
	s_load_dwordx2 s[22:23], s[0:1], 0x8
	s_waitcnt lgkmcnt(0)
	s_add_u32 s8, s22, -1
	s_addc_u32 s9, s23, -1
	s_lshr_b64 s[8:9], s[8:9], 4
	s_add_u32 s10, s8, 1
	s_addc_u32 s11, s9, 0
	v_cmp_lt_u64_e64 s8, s[6:7], s[10:11]
	s_and_b32 vcc_lo, exec_lo, s8
	s_cbranch_vccnz .LBB0_2
; %bb.1:
	v_cvt_f32_u32_e32 v1, s10
	s_sub_i32 s9, 0, s10
	s_mov_b32 s27, s7
	v_rcp_iflag_f32_e32 v1, v1
	v_mul_f32_e32 v1, 0x4f7ffffe, v1
	v_cvt_u32_f32_e32 v1, v1
	v_readfirstlane_b32 s8, v1
	s_mul_i32 s9, s9, s8
	s_mul_hi_u32 s9, s8, s9
	s_add_i32 s8, s8, s9
	s_mul_hi_u32 s8, s6, s8
	s_mul_i32 s9, s8, s10
	s_add_i32 s12, s8, 1
	s_sub_i32 s9, s6, s9
	s_sub_i32 s13, s9, s10
	s_cmp_ge_u32 s9, s10
	s_cselect_b32 s8, s12, s8
	s_cselect_b32 s9, s13, s9
	s_add_i32 s12, s8, 1
	s_cmp_ge_u32 s9, s10
	s_cselect_b32 s26, s12, s8
.LBB0_2:
	s_load_dwordx2 s[18:19], s[0:1], 0x10
	s_clause 0x1
	s_load_dwordx2 s[24:25], s[4:5], 0x18
	s_load_dwordx2 s[8:9], s[4:5], 0x50
	s_load_dwordx4 s[12:15], s[2:3], 0x0
	s_mov_b64 s[16:17], s[26:27]
	s_waitcnt lgkmcnt(0)
	v_cmp_lt_u64_e64 s0, s[26:27], s[18:19]
	s_and_b32 vcc_lo, exec_lo, s0
	s_cbranch_vccnz .LBB0_4
; %bb.3:
	v_cvt_f32_u32_e32 v1, s18
	s_sub_i32 s1, 0, s18
	v_rcp_iflag_f32_e32 v1, v1
	v_mul_f32_e32 v1, 0x4f7ffffe, v1
	v_cvt_u32_f32_e32 v1, v1
	v_readfirstlane_b32 s0, v1
	s_mul_i32 s1, s1, s0
	s_mul_hi_u32 s1, s0, s1
	s_add_i32 s0, s0, s1
	s_mul_hi_u32 s0, s26, s0
	s_mul_i32 s0, s0, s18
	s_sub_i32 s0, s26, s0
	s_sub_i32 s1, s0, s18
	s_cmp_ge_u32 s0, s18
	s_cselect_b32 s0, s1, s0
	s_sub_i32 s1, s0, s18
	s_cmp_ge_u32 s0, s18
	s_cselect_b32 s16, s1, s0
.LBB0_4:
	s_load_dwordx2 s[20:21], s[4:5], 0x0
	s_load_dwordx2 s[0:1], s[2:3], 0x10
	s_mul_i32 s13, s18, s11
	s_waitcnt lgkmcnt(0)
	s_mul_hi_u32 s1, s18, s10
	s_mul_i32 s28, s18, s10
	s_add_i32 s1, s1, s13
	s_mul_i32 s13, s19, s10
	s_mov_b64 s[18:19], 0
	s_add_i32 s29, s1, s13
	v_cmp_lt_u64_e64 s1, s[6:7], s[28:29]
	s_and_b32 vcc_lo, exec_lo, s1
	s_cbranch_vccnz .LBB0_6
; %bb.5:
	v_cvt_f32_u32_e32 v1, s28
	s_sub_i32 s7, 0, s28
	v_rcp_iflag_f32_e32 v1, v1
	v_mul_f32_e32 v1, 0x4f7ffffe, v1
	v_cvt_u32_f32_e32 v1, v1
	v_readfirstlane_b32 s1, v1
	s_mul_i32 s7, s7, s1
	s_mul_hi_u32 s7, s1, s7
	s_add_i32 s1, s1, s7
	s_mul_hi_u32 s1, s6, s1
	s_mul_i32 s7, s1, s28
	s_add_i32 s13, s1, 1
	s_sub_i32 s7, s6, s7
	s_sub_i32 s15, s7, s28
	s_cmp_ge_u32 s7, s28
	s_cselect_b32 s1, s13, s1
	s_cselect_b32 s7, s15, s7
	s_add_i32 s13, s1, 1
	s_cmp_ge_u32 s7, s28
	s_cselect_b32 s18, s13, s1
.LBB0_6:
	s_load_dword s7, s[2:3], 0x18
	s_mul_i32 s1, s26, s11
	s_mul_hi_u32 s2, s26, s10
	s_mul_i32 s3, s26, s10
	v_lshrrev_b32_e32 v34, 4, v0
	s_add_i32 s2, s2, s1
	s_mul_i32 s10, s0, s16
	v_and_b32_e32 v31, 15, v0
	s_sub_u32 s0, s6, s3
	s_subb_u32 s1, 0, s2
	v_add_nc_u32_e32 v4, 28, v34
	s_lshl_b64 s[2:3], s[0:1], 4
	v_or_b32_e32 v33, 8, v34
	s_mul_i32 s0, s14, s2
	v_or_b32_e32 v1, s2, v31
	v_mov_b32_e32 v2, s3
	v_add_nc_u32_e32 v6, 36, v34
	v_or_b32_e32 v9, 16, v34
	v_add_nc_u32_e32 v7, 44, v34
	s_add_i32 s10, s10, s0
	s_waitcnt lgkmcnt(0)
	s_mul_i32 s0, s7, s18
	v_mul_lo_u32 v5, s14, v31
	v_mul_lo_u32 v3, s12, v34
	;; [unrolled: 1-line block ×3, first 2 shown]
	s_add_i32 s0, s0, s10
	s_add_u32 s6, s2, 16
	v_cmp_gt_u64_e32 vcc_lo, s[22:23], v[1:2]
	v_mul_lo_u32 v1, s12, v33
	s_addc_u32 s7, s3, 0
	v_mul_lo_u32 v2, s12, v6
	v_mul_lo_u32 v6, s12, v9
	;; [unrolled: 1-line block ×3, first 2 shown]
	v_cmp_le_u64_e64 s13, s[6:7], s[22:23]
	v_add_lshl_u32 v3, v5, v3, 4
	v_add_lshl_u32 v4, v5, v4, 4
	;; [unrolled: 1-line block ×3, first 2 shown]
	v_cndmask_b32_e64 v8, 0, 1, vcc_lo
	v_add_lshl_u32 v2, v5, v2, 4
	s_or_b32 vcc_lo, s13, vcc_lo
	v_add_lshl_u32 v6, v5, v6, 4
	v_add_lshl_u32 v7, v5, v7, 4
	s_lshl_b32 s1, s0, 4
	v_cndmask_b32_e32 v3, -1, v3, vcc_lo
	v_cmp_gt_u32_e64 s0, 64, v0
	v_cndmask_b32_e32 v10, -1, v4, vcc_lo
	v_cndmask_b32_e32 v15, -1, v1, vcc_lo
	s_mov_b32 s11, 0x31014000
	s_mov_b32 s10, -2
	v_cndmask_b32_e32 v19, -1, v2, vcc_lo
	v_cndmask_b32_e32 v6, -1, v6, vcc_lo
	;; [unrolled: 1-line block ×3, first 2 shown]
	v_cmp_lt_u32_e32 vcc_lo, 63, v0
	s_clause 0x5
	buffer_load_dwordx4 v[1:4], v3, s[8:11], s1 offen
	buffer_load_dwordx4 v[11:14], v10, s[8:11], s1 offen
	;; [unrolled: 1-line block ×6, first 2 shown]
	v_cndmask_b32_e64 v6, 0, 1, s0
	v_or_b32_e32 v10, 24, v34
	v_add_nc_u32_e32 v7, 52, v34
	s_or_b32 vcc_lo, vcc_lo, s13
	v_cndmask_b32_e32 v6, v8, v6, vcc_lo
	v_mul_lo_u32 v32, s12, v10
	v_mul_lo_u32 v7, s12, v7
	v_and_b32_e32 v6, 1, v6
	v_add_lshl_u32 v8, v5, v32, 4
	v_cmp_eq_u32_e32 vcc_lo, 1, v6
	v_add_lshl_u32 v5, v5, v7, 4
	v_cndmask_b32_e32 v6, -1, v8, vcc_lo
	v_cndmask_b32_e32 v32, -1, v5, vcc_lo
	s_clause 0x1
	buffer_load_dwordx4 v[5:8], v6, s[8:11], s1 offen
	buffer_load_dwordx4 v[35:38], v32, s[8:11], s1 offen
	s_load_dwordx8 s[8:15], s[24:25], 0x0
	v_cmp_gt_u64_e64 s1, s[6:7], s[22:23]
	s_waitcnt vmcnt(6)
	v_add_f64 v[39:40], v[1:2], -v[11:12]
	v_add_f64 v[41:42], v[3:4], -v[13:14]
	s_waitcnt vmcnt(4)
	v_add_f64 v[19:20], v[15:16], -v[19:20]
	v_add_f64 v[21:22], v[17:18], -v[21:22]
	;; [unrolled: 3-line block ×3, first 2 shown]
	v_lshl_add_u32 v11, v34, 9, 0
	v_lshl_add_u32 v12, v33, 9, 0
	;; [unrolled: 1-line block ×3, first 2 shown]
	v_fma_f64 v[43:44], v[1:2], 2.0, -v[39:40]
	v_fma_f64 v[45:46], v[3:4], 2.0, -v[41:42]
	;; [unrolled: 1-line block ×6, first 2 shown]
	s_waitcnt vmcnt(0)
	v_add_f64 v[1:2], v[5:6], -v[35:36]
	v_add_f64 v[3:4], v[7:8], -v[37:38]
	v_lshlrev_b32_e32 v35, 4, v31
	v_add_nc_u32_e32 v18, v11, v35
	v_add_nc_u32_e32 v31, v12, v35
	;; [unrolled: 1-line block ×3, first 2 shown]
	ds_write_b128 v18, v[39:42] offset:256
	ds_write_b128 v31, v[19:22] offset:256
	ds_write_b128 v18, v[43:46]
	ds_write_b128 v31, v[14:17]
	;; [unrolled: 1-line block ×3, first 2 shown]
	ds_write_b128 v32, v[27:30] offset:256
	s_and_saveexec_b32 s6, s0
	s_cbranch_execz .LBB0_8
; %bb.7:
	v_fma_f64 v[7:8], v[7:8], 2.0, -v[3:4]
	v_fma_f64 v[5:6], v[5:6], 2.0, -v[1:2]
	v_lshlrev_b32_e32 v14, 9, v10
	v_add3_u32 v14, 0, v14, v35
	ds_write_b128 v14, v[5:8]
	ds_write_b128 v14, v[1:4] offset:256
.LBB0_8:
	s_or_b32 exec_lo, exec_lo, s6
	v_bfe_u32 v63, v0, 4, 1
	s_waitcnt lgkmcnt(0)
	s_barrier
	buffer_gl0_inv
	v_lshlrev_b32_e32 v9, 8, v9
	v_mul_u32_u24_e32 v5, 6, v63
	v_lshlrev_b32_e32 v36, 8, v34
	s_mov_b32 s6, 0x37e14327
	s_mov_b32 s7, 0x3fe948f6
	v_sub_nc_u32_e32 v9, v13, v9
	v_lshlrev_b32_e32 v30, 4, v5
	s_mov_b32 s22, 0x36b3c0b5
	s_mov_b32 s24, 0xe976ee23
	;; [unrolled: 1-line block ×3, first 2 shown]
	v_add_nc_u32_e32 v9, v9, v35
	s_clause 0x5
	global_load_dwordx4 v[5:8], v30, s[20:21]
	global_load_dwordx4 v[14:17], v30, s[20:21] offset:16
	global_load_dwordx4 v[18:21], v30, s[20:21] offset:80
	;; [unrolled: 1-line block ×5, first 2 shown]
	v_lshlrev_b32_e32 v30, 8, v33
	s_mov_b32 s25, 0x3fe11646
	s_mov_b32 s27, 0x3fe77f67
	;; [unrolled: 1-line block ×4, first 2 shown]
	v_sub_nc_u32_e32 v12, v12, v30
	s_mov_b32 s28, 0xb247c609
	v_cmp_gt_u32_e32 vcc_lo, 0x60, v0
	ds_read_b128 v[47:50], v9
	v_sub_nc_u32_e32 v9, v11, v36
	v_add_nc_u32_e32 v38, v12, v35
	v_add_nc_u32_e32 v37, v9, v35
	ds_read_b128 v[43:46], v38
	ds_read_b128 v[51:54], v37 offset:12288
	s_waitcnt vmcnt(5) lgkmcnt(1)
	v_mul_f64 v[11:12], v[45:46], v[7:8]
	v_mul_f64 v[30:31], v[43:44], v[7:8]
	v_lshlrev_b32_e32 v7, 8, v10
	s_waitcnt vmcnt(4)
	v_mul_f64 v[59:60], v[49:50], v[16:17]
	v_mul_f64 v[16:17], v[47:48], v[16:17]
	v_add3_u32 v13, 0, v7, v35
	ds_read_b128 v[7:10], v37 offset:10240
	ds_read_b128 v[55:58], v13
	v_fma_f64 v[11:12], v[43:44], v[5:6], v[11:12]
	v_fma_f64 v[5:6], v[45:46], v[5:6], -v[30:31]
	s_waitcnt vmcnt(3) lgkmcnt(2)
	v_mul_f64 v[30:31], v[53:54], v[20:21]
	v_mul_f64 v[20:21], v[51:52], v[20:21]
	ds_read_b128 v[43:46], v37 offset:8192
	v_fma_f64 v[47:48], v[47:48], v[14:15], v[59:60]
	v_fma_f64 v[13:14], v[49:50], v[14:15], -v[16:17]
	s_waitcnt vmcnt(2) lgkmcnt(2)
	v_mul_f64 v[15:16], v[9:10], v[24:25]
	v_mul_f64 v[24:25], v[7:8], v[24:25]
	s_waitcnt vmcnt(1) lgkmcnt(1)
	v_mul_f64 v[49:50], v[57:58], v[28:29]
	v_mul_f64 v[28:29], v[55:56], v[28:29]
	v_fma_f64 v[30:31], v[51:52], v[18:19], v[30:31]
	v_fma_f64 v[17:18], v[53:54], v[18:19], -v[20:21]
	s_waitcnt vmcnt(0) lgkmcnt(0)
	v_mul_f64 v[19:20], v[45:46], v[41:42]
	v_mul_f64 v[41:42], v[43:44], v[41:42]
	v_fma_f64 v[7:8], v[7:8], v[22:23], v[15:16]
	v_fma_f64 v[9:10], v[9:10], v[22:23], -v[24:25]
	v_fma_f64 v[15:16], v[55:56], v[26:27], v[49:50]
	v_fma_f64 v[21:22], v[57:58], v[26:27], -v[28:29]
	v_add_f64 v[25:26], v[11:12], v[30:31]
	v_add_f64 v[27:28], v[5:6], v[17:18]
	v_fma_f64 v[19:20], v[43:44], v[39:40], v[19:20]
	v_fma_f64 v[23:24], v[45:46], v[39:40], -v[41:42]
	v_add_f64 v[11:12], v[11:12], -v[30:31]
	v_add_f64 v[39:40], v[47:48], v[7:8]
	v_add_f64 v[41:42], v[13:14], v[9:10]
	v_add_f64 v[47:48], v[47:48], -v[7:8]
	v_add_f64 v[9:10], v[13:14], -v[9:10]
	v_add_f64 v[43:44], v[15:16], v[19:20]
	v_add_f64 v[45:46], v[21:22], v[23:24]
	v_add_f64 v[13:14], v[19:20], -v[15:16]
	v_add_f64 v[15:16], v[23:24], -v[21:22]
	;; [unrolled: 1-line block ×3, first 2 shown]
	v_add_f64 v[17:18], v[39:40], v[25:26]
	v_add_f64 v[19:20], v[41:42], v[27:28]
	v_add_f64 v[55:56], v[47:48], -v[11:12]
	ds_read_b128 v[5:8], v37
	s_waitcnt lgkmcnt(0)
	s_barrier
	buffer_gl0_inv
	v_add_f64 v[23:24], v[25:26], -v[43:44]
	v_add_f64 v[29:30], v[27:28], -v[45:46]
	;; [unrolled: 1-line block ×6, first 2 shown]
	v_add_f64 v[43:44], v[43:44], v[17:18]
	v_add_f64 v[45:46], v[45:46], v[19:20]
	v_add_f64 v[57:58], v[9:10], -v[21:22]
	v_add_f64 v[25:26], v[39:40], -v[25:26]
	;; [unrolled: 1-line block ×3, first 2 shown]
	v_add_f64 v[39:40], v[13:14], v[47:48]
	v_add_f64 v[9:10], v[15:16], v[9:10]
	v_add_f64 v[13:14], v[11:12], -v[13:14]
	v_add_f64 v[15:16], v[21:22], -v[15:16]
	v_mul_f64 v[23:24], v[23:24], s[6:7]
	v_mul_f64 v[29:30], v[29:30], s[6:7]
	s_mov_b32 s6, 0x429ad128
	v_mul_f64 v[41:42], v[31:32], s[22:23]
	v_mul_f64 v[47:48], v[49:50], s[22:23]
	;; [unrolled: 1-line block ×4, first 2 shown]
	s_mov_b32 s7, 0xbfebfeb5
	v_add_f64 v[17:18], v[5:6], v[43:44]
	v_add_f64 v[19:20], v[7:8], v[45:46]
	v_mul_f64 v[59:60], v[55:56], s[6:7]
	v_mul_f64 v[61:62], v[57:58], s[6:7]
	s_mov_b32 s24, 0xaaaaaaaa
	s_mov_b32 s25, 0xbff2aaaa
	v_add_f64 v[5:6], v[39:40], v[11:12]
	v_add_f64 v[7:8], v[9:10], v[21:22]
	v_fma_f64 v[9:10], v[31:32], s[22:23], v[23:24]
	v_fma_f64 v[11:12], v[49:50], s[22:23], v[29:30]
	v_fma_f64 v[21:22], v[25:26], s[26:27], -v[41:42]
	v_fma_f64 v[31:32], v[27:28], s[26:27], -v[47:48]
	s_mov_b32 s27, 0xbfe77f67
	v_fma_f64 v[39:40], v[13:14], s[28:29], v[51:52]
	v_fma_f64 v[41:42], v[15:16], s[28:29], v[53:54]
	s_mov_b32 s29, 0x3fd5d0dc
	v_fma_f64 v[43:44], v[43:44], s[24:25], v[17:18]
	v_fma_f64 v[45:46], v[45:46], s[24:25], v[19:20]
	v_fma_f64 v[13:14], v[13:14], s[28:29], -v[59:60]
	v_fma_f64 v[15:16], v[15:16], s[28:29], -v[61:62]
	;; [unrolled: 1-line block ×6, first 2 shown]
	s_mov_b32 s6, 0x37c3f68c
	s_mov_b32 s7, 0xbfdc38aa
	v_fma_f64 v[39:40], v[5:6], s[6:7], v[39:40]
	v_fma_f64 v[41:42], v[7:8], s[6:7], v[41:42]
	v_add_f64 v[51:52], v[9:10], v[43:44]
	v_add_f64 v[53:54], v[11:12], v[45:46]
	v_fma_f64 v[13:14], v[5:6], s[6:7], v[13:14]
	v_fma_f64 v[15:16], v[7:8], s[6:7], v[15:16]
	v_add_f64 v[9:10], v[23:24], v[43:44]
	v_add_f64 v[11:12], v[25:26], v[45:46]
	;; [unrolled: 4-line block ×3, first 2 shown]
	v_lshrrev_b32_e32 v21, 5, v0
	v_mul_u32_u24_e32 v43, 14, v21
	v_add_f64 v[21:22], v[41:42], v[51:52]
	v_add_f64 v[23:24], v[53:54], -v[39:40]
	v_add_f64 v[25:26], v[15:16], v[9:10]
	v_add_f64 v[27:28], v[11:12], -v[13:14]
	v_add_f64 v[9:10], v[9:10], -v[15:16]
	v_add_f64 v[11:12], v[13:14], v[11:12]
	v_add_f64 v[29:30], v[5:6], -v[49:50]
	v_add_f64 v[31:32], v[47:48], v[7:8]
	v_add_f64 v[5:6], v[49:50], v[5:6]
	v_add_f64 v[7:8], v[7:8], -v[47:48]
	v_add_f64 v[13:14], v[51:52], -v[41:42]
	v_add_f64 v[15:16], v[39:40], v[53:54]
	v_or_b32_e32 v39, v43, v63
	v_lshlrev_b32_e32 v39, 8, v39
	v_add3_u32 v39, 0, v39, v35
	ds_write_b128 v39, v[17:20]
	ds_write_b128 v39, v[21:24] offset:512
	ds_write_b128 v39, v[25:28] offset:1024
	;; [unrolled: 1-line block ×6, first 2 shown]
	s_waitcnt lgkmcnt(0)
	s_barrier
	buffer_gl0_inv
	ds_read_b128 v[17:20], v37
	ds_read_b128 v[29:32], v37 offset:3584
	ds_read_b128 v[25:28], v37 offset:7168
	ds_read_b128 v[21:24], v37 offset:10752
	s_and_saveexec_b32 s0, vcc_lo
	s_cbranch_execz .LBB0_10
; %bb.9:
	ds_read_b128 v[9:12], v37 offset:5632
	ds_read_b128 v[13:16], v37 offset:9216
	ds_read_b128 v[5:8], v38
	ds_read_b128 v[1:4], v37 offset:12800
.LBB0_10:
	s_or_b32 exec_lo, exec_lo, s0
	v_mul_lo_u16 v37, v34, 3
	v_mov_b32_e32 v34, 4
	s_load_dwordx2 s[4:5], s[4:5], 0x58
	v_add3_u32 v36, 0, v36, v35
	v_lshlrev_b32_sdwa v45, v34, v37 dst_sel:DWORD dst_unused:UNUSED_PAD src0_sel:DWORD src1_sel:WORD_0
	s_clause 0x2
	global_load_dwordx4 v[37:40], v45, s[20:21] offset:192
	global_load_dwordx4 v[41:44], v45, s[20:21] offset:208
	;; [unrolled: 1-line block ×3, first 2 shown]
	s_waitcnt vmcnt(0) lgkmcnt(0)
	s_barrier
	buffer_gl0_inv
	v_mul_f64 v[49:50], v[31:32], v[39:40]
	v_mul_f64 v[39:40], v[29:30], v[39:40]
	;; [unrolled: 1-line block ×6, first 2 shown]
	v_fma_f64 v[29:30], v[29:30], v[37:38], v[49:50]
	v_fma_f64 v[31:32], v[31:32], v[37:38], -v[39:40]
	v_fma_f64 v[25:26], v[25:26], v[41:42], v[51:52]
	v_fma_f64 v[27:28], v[27:28], v[41:42], -v[43:44]
	;; [unrolled: 2-line block ×3, first 2 shown]
	v_add_f64 v[25:26], v[17:18], -v[25:26]
	v_add_f64 v[27:28], v[19:20], -v[27:28]
	;; [unrolled: 1-line block ×4, first 2 shown]
	v_fma_f64 v[37:38], v[17:18], 2.0, -v[25:26]
	v_fma_f64 v[39:40], v[19:20], 2.0, -v[27:28]
	;; [unrolled: 1-line block ×4, first 2 shown]
	v_add_f64 v[17:18], v[25:26], v[23:24]
	v_add_f64 v[19:20], v[27:28], -v[21:22]
	v_add_f64 v[21:22], v[37:38], -v[29:30]
	;; [unrolled: 1-line block ×3, first 2 shown]
	v_fma_f64 v[25:26], v[25:26], 2.0, -v[17:18]
	v_fma_f64 v[27:28], v[27:28], 2.0, -v[19:20]
	;; [unrolled: 1-line block ×4, first 2 shown]
	ds_write_b128 v36, v[25:28] offset:3584
	ds_write_b128 v36, v[21:24] offset:7168
	ds_write_b128 v36, v[29:32]
	ds_write_b128 v36, v[17:20] offset:10752
	s_and_saveexec_b32 s0, vcc_lo
	s_cbranch_execz .LBB0_12
; %bb.11:
	v_mul_lo_u16 v17, v33, 19
	v_lshrrev_b16 v17, 8, v17
	v_mul_lo_u16 v17, v17, 14
	v_sub_nc_u16 v17, v33, v17
	v_mul_lo_u16 v17, v17, 3
	v_lshlrev_b32_sdwa v25, v34, v17 dst_sel:DWORD dst_unused:UNUSED_PAD src0_sel:DWORD src1_sel:BYTE_0
	s_clause 0x2
	global_load_dwordx4 v[17:20], v25, s[20:21] offset:208
	global_load_dwordx4 v[21:24], v25, s[20:21] offset:192
	;; [unrolled: 1-line block ×3, first 2 shown]
	s_waitcnt vmcnt(2)
	v_mul_f64 v[29:30], v[13:14], v[19:20]
	s_waitcnt vmcnt(1)
	v_mul_f64 v[31:32], v[11:12], v[23:24]
	v_mul_f64 v[23:24], v[9:10], v[23:24]
	s_waitcnt vmcnt(0)
	v_mul_f64 v[33:34], v[1:2], v[27:28]
	v_mul_f64 v[19:20], v[15:16], v[19:20]
	;; [unrolled: 1-line block ×3, first 2 shown]
	v_fma_f64 v[15:16], v[15:16], v[17:18], -v[29:30]
	v_fma_f64 v[9:10], v[9:10], v[21:22], v[31:32]
	v_fma_f64 v[11:12], v[11:12], v[21:22], -v[23:24]
	v_fma_f64 v[3:4], v[3:4], v[25:26], -v[33:34]
	v_fma_f64 v[13:14], v[13:14], v[17:18], v[19:20]
	v_fma_f64 v[1:2], v[1:2], v[25:26], v[27:28]
	v_add_f64 v[15:16], v[7:8], -v[15:16]
	v_add_f64 v[17:18], v[11:12], -v[3:4]
	;; [unrolled: 1-line block ×4, first 2 shown]
	v_fma_f64 v[19:20], v[7:8], 2.0, -v[15:16]
	v_fma_f64 v[7:8], v[11:12], 2.0, -v[17:18]
	;; [unrolled: 1-line block ×4, first 2 shown]
	v_add_f64 v[3:4], v[15:16], -v[1:2]
	v_add_f64 v[1:2], v[13:14], v[17:18]
	v_and_b32_e32 v17, 0x70, v0
	v_lshlrev_b32_e32 v17, 4, v17
	v_add3_u32 v17, 0, v17, v35
	v_add_f64 v[7:8], v[19:20], -v[7:8]
	v_add_f64 v[5:6], v[21:22], -v[5:6]
	v_fma_f64 v[11:12], v[15:16], 2.0, -v[3:4]
	v_fma_f64 v[9:10], v[13:14], 2.0, -v[1:2]
	;; [unrolled: 1-line block ×4, first 2 shown]
	ds_write_b128 v17, v[9:12] offset:5632
	ds_write_b128 v17, v[5:8] offset:9216
	;; [unrolled: 1-line block ×4, first 2 shown]
.LBB0_12:
	s_or_b32 exec_lo, exec_lo, s0
	s_mul_i32 s0, s10, s3
	s_mul_hi_u32 s3, s10, s2
	s_mul_i32 s6, s11, s2
	s_add_i32 s0, s3, s0
	s_mul_i32 s3, s13, s16
	s_add_i32 s0, s0, s6
	s_mul_hi_u32 s6, s12, s16
	s_mul_i32 s2, s10, s2
	s_mul_i32 s7, s12, s16
	s_add_i32 s6, s6, s3
	s_add_u32 s2, s7, s2
	s_mul_i32 s3, s15, s18
	s_mul_hi_u32 s7, s14, s18
	s_addc_u32 s0, s6, s0
	s_add_i32 s7, s7, s3
	s_mul_i32 s3, s14, s18
	s_waitcnt lgkmcnt(0)
	s_add_u32 s2, s3, s2
	s_addc_u32 s3, s7, s0
	s_andn2_b32 vcc_lo, exec_lo, s1
	s_mov_b32 s0, -1
	s_barrier
	buffer_gl0_inv
	s_cbranch_vccz .LBB0_15
; %bb.13:
	s_andn2_b32 vcc_lo, exec_lo, s0
	s_cbranch_vccz .LBB0_19
.LBB0_14:
	s_endpgm
.LBB0_15:
	s_mov_b32 s1, exec_lo
	v_cmpx_gt_u32_e32 0x380, v0
	s_cbranch_execz .LBB0_18
; %bb.16:
	s_lshl_b64 s[6:7], s[2:3], 4
	v_mov_b32_e32 v1, 0x2493
	v_mov_b32_e32 v2, v0
	s_add_u32 s6, s4, s6
	s_addc_u32 s7, s5, s7
	s_mov_b32 s12, 0
.LBB0_17:                               ; =>This Inner Loop Header: Depth=1
	v_lshrrev_b16 v3, 3, v2
	v_mul_u32_u24_sdwa v3, v3, v1 dst_sel:DWORD dst_unused:UNUSED_PAD src0_sel:WORD_0 src1_sel:DWORD
	v_lshrrev_b32_e32 v6, 16, v3
	v_mul_lo_u16 v3, v6, 56
	v_mad_u64_u32 v[7:8], null, s10, v6, 0
	v_sub_nc_u16 v4, v2, v3
	v_add_nc_u32_e32 v2, 0x80, v2
	v_mov_b32_e32 v3, v8
	v_and_b32_e32 v5, 0xffff, v4
	v_lshlrev_b16 v4, 4, v4
	v_mad_u64_u32 v[9:10], null, s8, v5, 0
	v_add_nc_u16 v4, v4, v6
	v_and_b32_e32 v8, 0xffff, v4
	v_mov_b32_e32 v4, v10
	v_lshl_add_u32 v8, v8, 4, 0
	v_mad_u64_u32 v[4:5], null, s9, v5, v[4:5]
	v_mad_u64_u32 v[11:12], null, s11, v6, v[3:4]
	v_mov_b32_e32 v10, v4
	ds_read_b128 v[3:6], v8
	v_lshlrev_b64 v[9:10], 4, v[9:10]
	v_mov_b32_e32 v8, v11
	v_add_co_u32 v9, vcc_lo, s6, v9
	v_lshlrev_b64 v[7:8], 4, v[7:8]
	v_add_co_ci_u32_e32 v10, vcc_lo, s7, v10, vcc_lo
	v_cmp_lt_u32_e32 vcc_lo, 0x37f, v2
	v_add_co_u32 v7, s0, v9, v7
	v_add_co_ci_u32_e64 v8, s0, v10, v8, s0
	s_or_b32 s12, vcc_lo, s12
	s_waitcnt lgkmcnt(0)
	global_store_dwordx4 v[7:8], v[3:6], off
	s_andn2_b32 exec_lo, exec_lo, s12
	s_cbranch_execnz .LBB0_17
.LBB0_18:
	s_or_b32 exec_lo, exec_lo, s1
	s_cbranch_execnz .LBB0_14
.LBB0_19:
	v_mul_u32_u24_e32 v1, 0x493, v0
	v_or_b32_e32 v5, 0x80, v0
	v_mov_b32_e32 v20, 0x493
	v_or_b32_e32 v6, 0x100, v0
	s_lshl_b64 s[0:1], s[2:3], 4
	v_lshrrev_b32_e32 v7, 16, v1
	s_add_u32 s0, s4, s0
	v_mul_u32_u24_sdwa v1, v5, v20 dst_sel:DWORD dst_unused:UNUSED_PAD src0_sel:WORD_0 src1_sel:DWORD
	v_mul_u32_u24_sdwa v3, v6, v20 dst_sel:DWORD dst_unused:UNUSED_PAD src0_sel:WORD_0 src1_sel:DWORD
	s_addc_u32 s1, s5, s1
	v_mul_lo_u16 v2, v7, 56
	v_or_b32_e32 v23, 0x180, v0
	v_lshrrev_b32_e32 v13, 16, v1
	v_lshrrev_b32_e32 v21, 16, v3
	v_sub_nc_u16 v8, v0, v2
	v_mad_u64_u32 v[1:2], null, s10, v7, 0
	v_mul_lo_u16 v11, v13, 56
	v_mul_lo_u16 v14, v21, 56
	v_and_b32_e32 v12, 0xffff, v8
	v_mad_u64_u32 v[9:10], null, s10, v13, 0
	v_sub_nc_u16 v11, v5, v11
	v_sub_nc_u16 v19, v6, v14
	v_mad_u64_u32 v[3:4], null, s8, v12, 0
	v_lshlrev_b16 v8, 4, v8
	v_and_b32_e32 v14, 0xffff, v11
	v_lshlrev_b16 v15, 4, v11
	v_and_b32_e32 v22, 0xffff, v19
	v_mad_u64_u32 v[17:18], null, s10, v21, 0
	v_mad_u64_u32 v[5:6], null, s11, v7, v[2:3]
	v_mov_b32_e32 v2, v10
	v_or_b32_e32 v10, v8, v7
	v_mul_u32_u24_sdwa v24, v23, v20 dst_sel:DWORD dst_unused:UNUSED_PAD src0_sel:WORD_0 src1_sel:DWORD
	v_mad_u64_u32 v[6:7], null, s9, v12, v[4:5]
	v_mad_u64_u32 v[11:12], null, s8, v14, 0
	;; [unrolled: 1-line block ×3, first 2 shown]
	v_mov_b32_e32 v2, v5
	v_and_b32_e32 v8, 0xffff, v10
	v_or_b32_e32 v10, v15, v13
	v_mov_b32_e32 v4, v6
	v_mov_b32_e32 v5, v12
	v_lshlrev_b64 v[1:2], 4, v[1:2]
	v_lshl_add_u32 v8, v8, 4, 0
	v_and_b32_e32 v12, 0xffff, v10
	v_lshlrev_b64 v[3:4], 4, v[3:4]
	v_mad_u64_u32 v[5:6], null, s9, v14, v[5:6]
	v_mov_b32_e32 v10, v7
	v_lshl_add_u32 v6, v12, 4, 0
	v_mad_u64_u32 v[15:16], null, s8, v22, 0
	v_add_co_u32 v3, vcc_lo, s0, v3
	v_mov_b32_e32 v12, v5
	v_add_co_ci_u32_e32 v4, vcc_lo, s1, v4, vcc_lo
	v_add_co_u32 v13, vcc_lo, v3, v1
	v_lshlrev_b64 v[11:12], 4, v[11:12]
	v_add_co_ci_u32_e32 v14, vcc_lo, v4, v2, vcc_lo
	ds_read_b128 v[1:4], v8
	ds_read_b128 v[5:8], v6
	v_lshlrev_b64 v[9:10], 4, v[9:10]
	v_lshrrev_b32_e32 v24, 16, v24
	v_add_co_u32 v11, vcc_lo, s0, v11
	v_add_co_ci_u32_e32 v12, vcc_lo, s1, v12, vcc_lo
	v_add_co_u32 v9, vcc_lo, v11, v9
	v_add_co_ci_u32_e32 v10, vcc_lo, v12, v10, vcc_lo
	v_mov_b32_e32 v11, v16
	v_mov_b32_e32 v12, v18
	v_lshlrev_b16 v16, 4, v19
	v_mad_u64_u32 v[18:19], null, s9, v22, v[11:12]
	v_mad_u64_u32 v[11:12], null, s11, v21, v[12:13]
	v_mul_lo_u16 v12, v24, 56
	s_waitcnt lgkmcnt(1)
	global_store_dwordx4 v[13:14], v[1:4], off
	v_or_b32_e32 v4, 0x200, v0
	v_or_b32_e32 v16, v16, v21
	s_waitcnt lgkmcnt(0)
	global_store_dwordx4 v[9:10], v[5:8], off
	v_sub_nc_u16 v3, v23, v12
	v_mul_u32_u24_sdwa v5, v4, v20 dst_sel:DWORD dst_unused:UNUSED_PAD src0_sel:WORD_0 src1_sel:DWORD
	v_and_b32_e32 v1, 0xffff, v16
	v_mov_b32_e32 v16, v18
	v_and_b32_e32 v6, 0xffff, v3
	v_mov_b32_e32 v18, v11
	v_lshrrev_b32_e32 v19, 16, v5
	v_lshl_add_u32 v7, v1, 4, 0
	v_lshlrev_b64 v[1:2], 4, v[15:16]
	v_mad_u64_u32 v[9:10], null, s8, v6, 0
	v_mad_u64_u32 v[11:12], null, s10, v24, 0
	v_mul_lo_u16 v5, v19, 56
	v_add_co_u32 v8, vcc_lo, s0, v1
	v_add_co_ci_u32_e32 v15, vcc_lo, s1, v2, vcc_lo
	v_lshlrev_b16 v13, 4, v3
	v_lshlrev_b64 v[1:2], 4, v[17:18]
	v_mov_b32_e32 v3, v10
	v_sub_nc_u16 v17, v4, v5
	v_mov_b32_e32 v4, v12
	v_or_b32_e32 v10, v13, v24
	v_or_b32_e32 v18, 0x280, v0
	v_add_co_u32 v21, vcc_lo, v8, v1
	v_mad_u64_u32 v[5:6], null, s9, v6, v[3:4]
	v_and_b32_e32 v16, 0xffff, v17
	v_add_co_ci_u32_e32 v22, vcc_lo, v15, v2, vcc_lo
	v_mul_u32_u24_sdwa v25, v18, v20 dst_sel:DWORD dst_unused:UNUSED_PAD src0_sel:WORD_0 src1_sel:DWORD
	v_or_b32_e32 v0, 0x300, v0
	v_mad_u64_u32 v[13:14], null, s8, v16, 0
	v_mad_u64_u32 v[3:4], null, s11, v24, v[4:5]
	v_and_b32_e32 v4, 0xffff, v10
	v_mov_b32_e32 v10, v5
	v_lshrrev_b32_e32 v29, 16, v25
	v_mad_u64_u32 v[14:15], null, s9, v16, v[14:15]
	v_lshlrev_b64 v[9:10], 4, v[9:10]
	v_mad_u64_u32 v[15:16], null, s10, v19, 0
	v_mov_b32_e32 v12, v3
	v_lshl_add_u32 v6, v4, 4, 0
	ds_read_b128 v[1:4], v7
	ds_read_b128 v[5:8], v6
	v_add_co_u32 v23, vcc_lo, s0, v9
	v_add_co_ci_u32_e32 v24, vcc_lo, s1, v10, vcc_lo
	v_lshlrev_b64 v[9:10], 4, v[11:12]
	v_mov_b32_e32 v11, v16
	v_lshlrev_b16 v16, 4, v17
	v_mul_u32_u24_sdwa v17, v0, v20 dst_sel:DWORD dst_unused:UNUSED_PAD src0_sel:WORD_0 src1_sel:DWORD
	v_mad_u64_u32 v[25:26], null, s10, v29, 0
	v_mad_u64_u32 v[11:12], null, s11, v19, v[11:12]
	v_or_b32_e32 v12, v16, v19
	v_mul_lo_u16 v16, v29, 56
	v_add_co_u32 v23, vcc_lo, v23, v9
	v_add_co_ci_u32_e32 v24, vcc_lo, v24, v10, vcc_lo
	v_sub_nc_u16 v19, v18, v16
	v_lshlrev_b64 v[9:10], 4, v[13:14]
	v_and_b32_e32 v12, 0xffff, v12
	v_lshrrev_b32_e32 v33, 16, v17
	v_mov_b32_e32 v16, v11
	v_and_b32_e32 v11, 0xffff, v19
	v_lshl_add_u32 v13, v12, 4, 0
	v_mul_lo_u16 v12, v33, 56
	v_add_co_u32 v14, vcc_lo, s0, v9
	v_add_co_ci_u32_e32 v20, vcc_lo, s1, v10, vcc_lo
	v_lshlrev_b64 v[9:10], 4, v[15:16]
	v_mad_u64_u32 v[17:18], null, s8, v11, 0
	v_sub_nc_u16 v15, v0, v12
	v_lshlrev_b16 v0, 4, v19
	v_add_co_u32 v27, vcc_lo, v14, v9
	v_add_co_ci_u32_e32 v28, vcc_lo, v20, v10, vcc_lo
	v_or_b32_e32 v10, v0, v29
	v_mov_b32_e32 v0, v18
	v_and_b32_e32 v16, 0xffff, v15
	v_mov_b32_e32 v9, v26
	v_and_b32_e32 v14, 0xffff, v10
	s_waitcnt lgkmcnt(1)
	v_mad_u64_u32 v[10:11], null, s9, v11, v[0:1]
	v_mad_u64_u32 v[19:20], null, s8, v16, 0
	v_lshl_add_u32 v14, v14, 4, 0
	v_mad_u64_u32 v[11:12], null, s11, v29, v[9:10]
	v_lshlrev_b16 v9, 4, v15
	v_mov_b32_e32 v0, v20
	v_mad_u64_u32 v[29:30], null, s10, v33, 0
	v_mov_b32_e32 v18, v10
	v_or_b32_e32 v20, v9, v33
	v_mad_u64_u32 v[31:32], null, s9, v16, v[0:1]
	v_mov_b32_e32 v26, v11
	v_lshlrev_b64 v[17:18], 4, v[17:18]
	v_mov_b32_e32 v0, v30
	v_and_b32_e32 v32, 0xffff, v20
	ds_read_b128 v[9:12], v13
	ds_read_b128 v[13:16], v14
	v_lshlrev_b64 v[25:26], 4, v[25:26]
	v_mov_b32_e32 v20, v31
	v_mad_u64_u32 v[30:31], null, s11, v33, v[0:1]
	v_lshl_add_u32 v0, v32, 4, 0
	v_add_co_u32 v33, vcc_lo, s0, v17
	v_lshlrev_b64 v[31:32], 4, v[19:20]
	v_add_co_ci_u32_e32 v34, vcc_lo, s1, v18, vcc_lo
	ds_read_b128 v[17:20], v0
	v_lshlrev_b64 v[29:30], 4, v[29:30]
	v_add_co_u32 v0, vcc_lo, s0, v31
	v_add_co_ci_u32_e32 v31, vcc_lo, s1, v32, vcc_lo
	v_add_co_u32 v25, vcc_lo, v33, v25
	v_add_co_ci_u32_e32 v26, vcc_lo, v34, v26, vcc_lo
	;; [unrolled: 2-line block ×3, first 2 shown]
	global_store_dwordx4 v[21:22], v[1:4], off
	s_waitcnt lgkmcnt(3)
	global_store_dwordx4 v[23:24], v[5:8], off
	s_waitcnt lgkmcnt(2)
	;; [unrolled: 2-line block ×4, first 2 shown]
	global_store_dwordx4 v[29:30], v[17:20], off
	s_endpgm
	.section	.rodata,"a",@progbits
	.p2align	6, 0x0
	.amdhsa_kernel fft_rtc_back_len56_factors_2_7_4_wgs_128_tpt_8_dim3_dp_op_CI_CI_sbcr_dirReg_intrinsicReadWrite
		.amdhsa_group_segment_fixed_size 0
		.amdhsa_private_segment_fixed_size 0
		.amdhsa_kernarg_size 96
		.amdhsa_user_sgpr_count 6
		.amdhsa_user_sgpr_private_segment_buffer 1
		.amdhsa_user_sgpr_dispatch_ptr 0
		.amdhsa_user_sgpr_queue_ptr 0
		.amdhsa_user_sgpr_kernarg_segment_ptr 1
		.amdhsa_user_sgpr_dispatch_id 0
		.amdhsa_user_sgpr_flat_scratch_init 0
		.amdhsa_user_sgpr_private_segment_size 0
		.amdhsa_wavefront_size32 1
		.amdhsa_uses_dynamic_stack 0
		.amdhsa_system_sgpr_private_segment_wavefront_offset 0
		.amdhsa_system_sgpr_workgroup_id_x 1
		.amdhsa_system_sgpr_workgroup_id_y 0
		.amdhsa_system_sgpr_workgroup_id_z 0
		.amdhsa_system_sgpr_workgroup_info 0
		.amdhsa_system_vgpr_workitem_id 0
		.amdhsa_next_free_vgpr 64
		.amdhsa_next_free_sgpr 30
		.amdhsa_reserve_vcc 1
		.amdhsa_reserve_flat_scratch 0
		.amdhsa_float_round_mode_32 0
		.amdhsa_float_round_mode_16_64 0
		.amdhsa_float_denorm_mode_32 3
		.amdhsa_float_denorm_mode_16_64 3
		.amdhsa_dx10_clamp 1
		.amdhsa_ieee_mode 1
		.amdhsa_fp16_overflow 0
		.amdhsa_workgroup_processor_mode 1
		.amdhsa_memory_ordered 1
		.amdhsa_forward_progress 0
		.amdhsa_shared_vgpr_count 0
		.amdhsa_exception_fp_ieee_invalid_op 0
		.amdhsa_exception_fp_denorm_src 0
		.amdhsa_exception_fp_ieee_div_zero 0
		.amdhsa_exception_fp_ieee_overflow 0
		.amdhsa_exception_fp_ieee_underflow 0
		.amdhsa_exception_fp_ieee_inexact 0
		.amdhsa_exception_int_div_zero 0
	.end_amdhsa_kernel
	.text
.Lfunc_end0:
	.size	fft_rtc_back_len56_factors_2_7_4_wgs_128_tpt_8_dim3_dp_op_CI_CI_sbcr_dirReg_intrinsicReadWrite, .Lfunc_end0-fft_rtc_back_len56_factors_2_7_4_wgs_128_tpt_8_dim3_dp_op_CI_CI_sbcr_dirReg_intrinsicReadWrite
                                        ; -- End function
	.section	.AMDGPU.csdata,"",@progbits
; Kernel info:
; codeLenInByte = 4888
; NumSgprs: 32
; NumVgprs: 64
; ScratchSize: 0
; MemoryBound: 0
; FloatMode: 240
; IeeeMode: 1
; LDSByteSize: 0 bytes/workgroup (compile time only)
; SGPRBlocks: 3
; VGPRBlocks: 7
; NumSGPRsForWavesPerEU: 32
; NumVGPRsForWavesPerEU: 64
; Occupancy: 16
; WaveLimiterHint : 1
; COMPUTE_PGM_RSRC2:SCRATCH_EN: 0
; COMPUTE_PGM_RSRC2:USER_SGPR: 6
; COMPUTE_PGM_RSRC2:TRAP_HANDLER: 0
; COMPUTE_PGM_RSRC2:TGID_X_EN: 1
; COMPUTE_PGM_RSRC2:TGID_Y_EN: 0
; COMPUTE_PGM_RSRC2:TGID_Z_EN: 0
; COMPUTE_PGM_RSRC2:TIDIG_COMP_CNT: 0
	.text
	.p2alignl 6, 3214868480
	.fill 48, 4, 3214868480
	.type	__hip_cuid_517714d276b9569f,@object ; @__hip_cuid_517714d276b9569f
	.section	.bss,"aw",@nobits
	.globl	__hip_cuid_517714d276b9569f
__hip_cuid_517714d276b9569f:
	.byte	0                               ; 0x0
	.size	__hip_cuid_517714d276b9569f, 1

	.ident	"AMD clang version 19.0.0git (https://github.com/RadeonOpenCompute/llvm-project roc-6.4.0 25133 c7fe45cf4b819c5991fe208aaa96edf142730f1d)"
	.section	".note.GNU-stack","",@progbits
	.addrsig
	.addrsig_sym __hip_cuid_517714d276b9569f
	.amdgpu_metadata
---
amdhsa.kernels:
  - .args:
      - .actual_access:  read_only
        .address_space:  global
        .offset:         0
        .size:           8
        .value_kind:     global_buffer
      - .actual_access:  read_only
        .address_space:  global
        .offset:         8
        .size:           8
        .value_kind:     global_buffer
      - .actual_access:  read_only
        .address_space:  global
        .offset:         16
        .size:           8
        .value_kind:     global_buffer
      - .actual_access:  read_only
        .address_space:  global
        .offset:         24
        .size:           8
        .value_kind:     global_buffer
      - .offset:         32
        .size:           8
        .value_kind:     by_value
      - .actual_access:  read_only
        .address_space:  global
        .offset:         40
        .size:           8
        .value_kind:     global_buffer
      - .actual_access:  read_only
        .address_space:  global
        .offset:         48
        .size:           8
        .value_kind:     global_buffer
      - .offset:         56
        .size:           4
        .value_kind:     by_value
      - .actual_access:  read_only
        .address_space:  global
        .offset:         64
        .size:           8
        .value_kind:     global_buffer
      - .actual_access:  read_only
        .address_space:  global
        .offset:         72
        .size:           8
        .value_kind:     global_buffer
      - .address_space:  global
        .offset:         80
        .size:           8
        .value_kind:     global_buffer
      - .actual_access:  write_only
        .address_space:  global
        .offset:         88
        .size:           8
        .value_kind:     global_buffer
    .group_segment_fixed_size: 0
    .kernarg_segment_align: 8
    .kernarg_segment_size: 96
    .language:       OpenCL C
    .language_version:
      - 2
      - 0
    .max_flat_workgroup_size: 128
    .name:           fft_rtc_back_len56_factors_2_7_4_wgs_128_tpt_8_dim3_dp_op_CI_CI_sbcr_dirReg_intrinsicReadWrite
    .private_segment_fixed_size: 0
    .sgpr_count:     32
    .sgpr_spill_count: 0
    .symbol:         fft_rtc_back_len56_factors_2_7_4_wgs_128_tpt_8_dim3_dp_op_CI_CI_sbcr_dirReg_intrinsicReadWrite.kd
    .uniform_work_group_size: 1
    .uses_dynamic_stack: false
    .vgpr_count:     64
    .vgpr_spill_count: 0
    .wavefront_size: 32
    .workgroup_processor_mode: 1
amdhsa.target:   amdgcn-amd-amdhsa--gfx1030
amdhsa.version:
  - 1
  - 2
...

	.end_amdgpu_metadata
